;; amdgpu-corpus repo=ROCm/rocFFT kind=compiled arch=gfx1201 opt=O3
	.text
	.amdgcn_target "amdgcn-amd-amdhsa--gfx1201"
	.amdhsa_code_object_version 6
	.protected	fft_rtc_fwd_len1274_factors_2_13_7_7_wgs_182_tpt_182_halfLds_half_op_CI_CI_unitstride_sbrr_R2C_dirReg ; -- Begin function fft_rtc_fwd_len1274_factors_2_13_7_7_wgs_182_tpt_182_halfLds_half_op_CI_CI_unitstride_sbrr_R2C_dirReg
	.globl	fft_rtc_fwd_len1274_factors_2_13_7_7_wgs_182_tpt_182_halfLds_half_op_CI_CI_unitstride_sbrr_R2C_dirReg
	.p2align	8
	.type	fft_rtc_fwd_len1274_factors_2_13_7_7_wgs_182_tpt_182_halfLds_half_op_CI_CI_unitstride_sbrr_R2C_dirReg,@function
fft_rtc_fwd_len1274_factors_2_13_7_7_wgs_182_tpt_182_halfLds_half_op_CI_CI_unitstride_sbrr_R2C_dirReg: ; @fft_rtc_fwd_len1274_factors_2_13_7_7_wgs_182_tpt_182_halfLds_half_op_CI_CI_unitstride_sbrr_R2C_dirReg
; %bb.0:
	s_clause 0x2
	s_load_b128 s[8:11], s[0:1], 0x0
	s_load_b128 s[4:7], s[0:1], 0x58
	;; [unrolled: 1-line block ×3, first 2 shown]
	v_mul_u32_u24_e32 v1, 0x169, v0
	v_mov_b32_e32 v3, 0
	v_mov_b32_e32 v11, 0
	;; [unrolled: 1-line block ×3, first 2 shown]
	s_delay_alu instid0(VALU_DEP_4) | instskip(NEXT) | instid1(VALU_DEP_1)
	v_lshrrev_b32_e32 v1, 16, v1
	v_dual_mov_b32 v8, v3 :: v_dual_add_nc_u32 v7, ttmp9, v1
	s_wait_kmcnt 0x0
	v_cmp_lt_u64_e64 s2, s[10:11], 2
	s_delay_alu instid0(VALU_DEP_1)
	s_and_b32 vcc_lo, exec_lo, s2
	s_cbranch_vccnz .LBB0_8
; %bb.1:
	s_load_b64 s[2:3], s[0:1], 0x10
	v_mov_b32_e32 v11, 0
	v_mov_b32_e32 v12, 0
	s_delay_alu instid0(VALU_DEP_2)
	v_mov_b32_e32 v1, v11
	s_add_nc_u64 s[16:17], s[14:15], 8
	s_add_nc_u64 s[18:19], s[12:13], 8
	s_mov_b64 s[20:21], 1
	v_mov_b32_e32 v2, v12
	s_wait_kmcnt 0x0
	s_add_nc_u64 s[22:23], s[2:3], 8
	s_mov_b32 s3, 0
.LBB0_2:                                ; =>This Inner Loop Header: Depth=1
	s_load_b64 s[24:25], s[22:23], 0x0
                                        ; implicit-def: $vgpr5_vgpr6
	s_mov_b32 s2, exec_lo
	s_wait_kmcnt 0x0
	v_or_b32_e32 v4, s25, v8
	s_delay_alu instid0(VALU_DEP_1)
	v_cmpx_ne_u64_e32 0, v[3:4]
	s_wait_alu 0xfffe
	s_xor_b32 s26, exec_lo, s2
	s_cbranch_execz .LBB0_4
; %bb.3:                                ;   in Loop: Header=BB0_2 Depth=1
	s_cvt_f32_u32 s2, s24
	s_cvt_f32_u32 s27, s25
	s_sub_nc_u64 s[30:31], 0, s[24:25]
	s_wait_alu 0xfffe
	s_delay_alu instid0(SALU_CYCLE_1) | instskip(SKIP_1) | instid1(SALU_CYCLE_2)
	s_fmamk_f32 s2, s27, 0x4f800000, s2
	s_wait_alu 0xfffe
	v_s_rcp_f32 s2, s2
	s_delay_alu instid0(TRANS32_DEP_1) | instskip(SKIP_1) | instid1(SALU_CYCLE_2)
	s_mul_f32 s2, s2, 0x5f7ffffc
	s_wait_alu 0xfffe
	s_mul_f32 s27, s2, 0x2f800000
	s_wait_alu 0xfffe
	s_delay_alu instid0(SALU_CYCLE_2) | instskip(SKIP_1) | instid1(SALU_CYCLE_2)
	s_trunc_f32 s27, s27
	s_wait_alu 0xfffe
	s_fmamk_f32 s2, s27, 0xcf800000, s2
	s_cvt_u32_f32 s29, s27
	s_wait_alu 0xfffe
	s_delay_alu instid0(SALU_CYCLE_1) | instskip(SKIP_1) | instid1(SALU_CYCLE_2)
	s_cvt_u32_f32 s28, s2
	s_wait_alu 0xfffe
	s_mul_u64 s[34:35], s[30:31], s[28:29]
	s_wait_alu 0xfffe
	s_mul_hi_u32 s37, s28, s35
	s_mul_i32 s36, s28, s35
	s_mul_hi_u32 s2, s28, s34
	s_mul_i32 s33, s29, s34
	s_wait_alu 0xfffe
	s_add_nc_u64 s[36:37], s[2:3], s[36:37]
	s_mul_hi_u32 s27, s29, s34
	s_mul_hi_u32 s38, s29, s35
	s_add_co_u32 s2, s36, s33
	s_wait_alu 0xfffe
	s_add_co_ci_u32 s2, s37, s27
	s_mul_i32 s34, s29, s35
	s_add_co_ci_u32 s35, s38, 0
	s_wait_alu 0xfffe
	s_add_nc_u64 s[34:35], s[2:3], s[34:35]
	s_wait_alu 0xfffe
	v_add_co_u32 v4, s2, s28, s34
	s_delay_alu instid0(VALU_DEP_1) | instskip(SKIP_1) | instid1(VALU_DEP_1)
	s_cmp_lg_u32 s2, 0
	s_add_co_ci_u32 s29, s29, s35
	v_readfirstlane_b32 s28, v4
	s_wait_alu 0xfffe
	s_delay_alu instid0(VALU_DEP_1)
	s_mul_u64 s[30:31], s[30:31], s[28:29]
	s_wait_alu 0xfffe
	s_mul_hi_u32 s35, s28, s31
	s_mul_i32 s34, s28, s31
	s_mul_hi_u32 s2, s28, s30
	s_mul_i32 s33, s29, s30
	s_wait_alu 0xfffe
	s_add_nc_u64 s[34:35], s[2:3], s[34:35]
	s_mul_hi_u32 s27, s29, s30
	s_mul_hi_u32 s28, s29, s31
	s_wait_alu 0xfffe
	s_add_co_u32 s2, s34, s33
	s_add_co_ci_u32 s2, s35, s27
	s_mul_i32 s30, s29, s31
	s_add_co_ci_u32 s31, s28, 0
	s_wait_alu 0xfffe
	s_add_nc_u64 s[30:31], s[2:3], s[30:31]
	s_wait_alu 0xfffe
	v_add_co_u32 v6, s2, v4, s30
	s_delay_alu instid0(VALU_DEP_1) | instskip(SKIP_1) | instid1(VALU_DEP_1)
	s_cmp_lg_u32 s2, 0
	s_add_co_ci_u32 s2, s29, s31
	v_mul_hi_u32 v15, v7, v6
	s_wait_alu 0xfffe
	v_mad_co_u64_u32 v[4:5], null, v7, s2, 0
	v_mad_co_u64_u32 v[9:10], null, v8, v6, 0
	;; [unrolled: 1-line block ×3, first 2 shown]
	s_delay_alu instid0(VALU_DEP_3) | instskip(SKIP_1) | instid1(VALU_DEP_4)
	v_add_co_u32 v4, vcc_lo, v15, v4
	s_wait_alu 0xfffd
	v_add_co_ci_u32_e32 v5, vcc_lo, 0, v5, vcc_lo
	s_delay_alu instid0(VALU_DEP_2) | instskip(SKIP_1) | instid1(VALU_DEP_2)
	v_add_co_u32 v4, vcc_lo, v4, v9
	s_wait_alu 0xfffd
	v_add_co_ci_u32_e32 v4, vcc_lo, v5, v10, vcc_lo
	s_wait_alu 0xfffd
	v_add_co_ci_u32_e32 v5, vcc_lo, 0, v14, vcc_lo
	s_delay_alu instid0(VALU_DEP_2) | instskip(SKIP_1) | instid1(VALU_DEP_2)
	v_add_co_u32 v9, vcc_lo, v4, v13
	s_wait_alu 0xfffd
	v_add_co_ci_u32_e32 v6, vcc_lo, 0, v5, vcc_lo
	s_delay_alu instid0(VALU_DEP_2) | instskip(SKIP_1) | instid1(VALU_DEP_3)
	v_mul_lo_u32 v10, s25, v9
	v_mad_co_u64_u32 v[4:5], null, s24, v9, 0
	v_mul_lo_u32 v13, s24, v6
	s_delay_alu instid0(VALU_DEP_2) | instskip(NEXT) | instid1(VALU_DEP_2)
	v_sub_co_u32 v4, vcc_lo, v7, v4
	v_add3_u32 v5, v5, v13, v10
	s_delay_alu instid0(VALU_DEP_1) | instskip(SKIP_1) | instid1(VALU_DEP_1)
	v_sub_nc_u32_e32 v10, v8, v5
	s_wait_alu 0xfffd
	v_subrev_co_ci_u32_e64 v10, s2, s25, v10, vcc_lo
	v_add_co_u32 v13, s2, v9, 2
	s_wait_alu 0xf1ff
	v_add_co_ci_u32_e64 v14, s2, 0, v6, s2
	v_sub_co_u32 v15, s2, v4, s24
	v_sub_co_ci_u32_e32 v5, vcc_lo, v8, v5, vcc_lo
	s_wait_alu 0xf1ff
	v_subrev_co_ci_u32_e64 v10, s2, 0, v10, s2
	s_delay_alu instid0(VALU_DEP_3) | instskip(NEXT) | instid1(VALU_DEP_3)
	v_cmp_le_u32_e32 vcc_lo, s24, v15
	v_cmp_eq_u32_e64 s2, s25, v5
	s_wait_alu 0xfffd
	v_cndmask_b32_e64 v15, 0, -1, vcc_lo
	v_cmp_le_u32_e32 vcc_lo, s25, v10
	s_wait_alu 0xfffd
	v_cndmask_b32_e64 v16, 0, -1, vcc_lo
	v_cmp_le_u32_e32 vcc_lo, s24, v4
	;; [unrolled: 3-line block ×3, first 2 shown]
	s_wait_alu 0xfffd
	v_cndmask_b32_e64 v17, 0, -1, vcc_lo
	v_cmp_eq_u32_e32 vcc_lo, s25, v10
	s_wait_alu 0xf1ff
	s_delay_alu instid0(VALU_DEP_2)
	v_cndmask_b32_e64 v4, v17, v4, s2
	s_wait_alu 0xfffd
	v_cndmask_b32_e32 v10, v16, v15, vcc_lo
	v_add_co_u32 v15, vcc_lo, v9, 1
	s_wait_alu 0xfffd
	v_add_co_ci_u32_e32 v16, vcc_lo, 0, v6, vcc_lo
	s_delay_alu instid0(VALU_DEP_3) | instskip(SKIP_1) | instid1(VALU_DEP_2)
	v_cmp_ne_u32_e32 vcc_lo, 0, v10
	s_wait_alu 0xfffd
	v_dual_cndmask_b32 v5, v16, v14 :: v_dual_cndmask_b32 v10, v15, v13
	v_cmp_ne_u32_e32 vcc_lo, 0, v4
	s_wait_alu 0xfffd
	s_delay_alu instid0(VALU_DEP_2)
	v_dual_cndmask_b32 v6, v6, v5 :: v_dual_cndmask_b32 v5, v9, v10
.LBB0_4:                                ;   in Loop: Header=BB0_2 Depth=1
	s_wait_alu 0xfffe
	s_and_not1_saveexec_b32 s2, s26
	s_cbranch_execz .LBB0_6
; %bb.5:                                ;   in Loop: Header=BB0_2 Depth=1
	v_cvt_f32_u32_e32 v4, s24
	s_sub_co_i32 s26, 0, s24
	s_delay_alu instid0(VALU_DEP_1) | instskip(NEXT) | instid1(TRANS32_DEP_1)
	v_rcp_iflag_f32_e32 v4, v4
	v_mul_f32_e32 v4, 0x4f7ffffe, v4
	s_delay_alu instid0(VALU_DEP_1) | instskip(SKIP_1) | instid1(VALU_DEP_1)
	v_cvt_u32_f32_e32 v4, v4
	s_wait_alu 0xfffe
	v_mul_lo_u32 v5, s26, v4
	s_delay_alu instid0(VALU_DEP_1) | instskip(NEXT) | instid1(VALU_DEP_1)
	v_mul_hi_u32 v5, v4, v5
	v_add_nc_u32_e32 v4, v4, v5
	s_delay_alu instid0(VALU_DEP_1) | instskip(NEXT) | instid1(VALU_DEP_1)
	v_mul_hi_u32 v4, v7, v4
	v_mul_lo_u32 v5, v4, s24
	v_add_nc_u32_e32 v6, 1, v4
	s_delay_alu instid0(VALU_DEP_2) | instskip(NEXT) | instid1(VALU_DEP_1)
	v_sub_nc_u32_e32 v5, v7, v5
	v_subrev_nc_u32_e32 v9, s24, v5
	v_cmp_le_u32_e32 vcc_lo, s24, v5
	s_wait_alu 0xfffd
	s_delay_alu instid0(VALU_DEP_2) | instskip(NEXT) | instid1(VALU_DEP_1)
	v_dual_cndmask_b32 v5, v5, v9 :: v_dual_cndmask_b32 v4, v4, v6
	v_cmp_le_u32_e32 vcc_lo, s24, v5
	s_delay_alu instid0(VALU_DEP_2) | instskip(SKIP_1) | instid1(VALU_DEP_1)
	v_add_nc_u32_e32 v6, 1, v4
	s_wait_alu 0xfffd
	v_dual_cndmask_b32 v5, v4, v6 :: v_dual_mov_b32 v6, v3
.LBB0_6:                                ;   in Loop: Header=BB0_2 Depth=1
	s_wait_alu 0xfffe
	s_or_b32 exec_lo, exec_lo, s2
	s_delay_alu instid0(VALU_DEP_1) | instskip(NEXT) | instid1(VALU_DEP_2)
	v_mul_lo_u32 v4, v6, s24
	v_mul_lo_u32 v13, v5, s25
	s_load_b64 s[26:27], s[18:19], 0x0
	v_mad_co_u64_u32 v[9:10], null, v5, s24, 0
	s_load_b64 s[24:25], s[16:17], 0x0
	s_add_nc_u64 s[20:21], s[20:21], 1
	s_add_nc_u64 s[16:17], s[16:17], 8
	s_wait_alu 0xfffe
	v_cmp_ge_u64_e64 s2, s[20:21], s[10:11]
	s_add_nc_u64 s[18:19], s[18:19], 8
	s_add_nc_u64 s[22:23], s[22:23], 8
	v_add3_u32 v4, v10, v13, v4
	v_sub_co_u32 v7, vcc_lo, v7, v9
	s_wait_alu 0xfffd
	s_delay_alu instid0(VALU_DEP_2) | instskip(SKIP_2) | instid1(VALU_DEP_1)
	v_sub_co_ci_u32_e32 v4, vcc_lo, v8, v4, vcc_lo
	s_and_b32 vcc_lo, exec_lo, s2
	s_wait_kmcnt 0x0
	v_mul_lo_u32 v8, s26, v4
	v_mul_lo_u32 v9, s27, v7
	v_mad_co_u64_u32 v[11:12], null, s26, v7, v[11:12]
	v_mul_lo_u32 v4, s24, v4
	v_mul_lo_u32 v10, s25, v7
	v_mad_co_u64_u32 v[1:2], null, s24, v7, v[1:2]
	s_delay_alu instid0(VALU_DEP_4) | instskip(NEXT) | instid1(VALU_DEP_2)
	v_add3_u32 v12, v9, v12, v8
	v_add3_u32 v2, v10, v2, v4
	s_wait_alu 0xfffe
	s_cbranch_vccnz .LBB0_9
; %bb.7:                                ;   in Loop: Header=BB0_2 Depth=1
	v_dual_mov_b32 v8, v6 :: v_dual_mov_b32 v7, v5
	s_branch .LBB0_2
.LBB0_8:
	v_dual_mov_b32 v1, v11 :: v_dual_mov_b32 v2, v12
	v_dual_mov_b32 v5, v7 :: v_dual_mov_b32 v6, v8
.LBB0_9:
	s_load_b64 s[0:1], s[0:1], 0x28
	v_mul_hi_u32 v4, 0x1681682, v0
	s_lshl_b64 s[10:11], s[10:11], 3
                                        ; implicit-def: $vgpr3
                                        ; implicit-def: $vgpr7
                                        ; implicit-def: $vgpr10
                                        ; implicit-def: $vgpr9
	s_wait_kmcnt 0x0
	v_cmp_gt_u64_e32 vcc_lo, s[0:1], v[5:6]
	v_cmp_le_u64_e64 s0, s[0:1], v[5:6]
	s_delay_alu instid0(VALU_DEP_1)
	s_and_saveexec_b32 s1, s0
	s_wait_alu 0xfffe
	s_xor_b32 s0, exec_lo, s1
; %bb.10:
	v_mul_u32_u24_e32 v3, 0xb6, v4
                                        ; implicit-def: $vgpr4
                                        ; implicit-def: $vgpr11_vgpr12
	s_delay_alu instid0(VALU_DEP_1) | instskip(NEXT) | instid1(VALU_DEP_1)
	v_sub_nc_u32_e32 v3, v0, v3
                                        ; implicit-def: $vgpr0
	v_add_nc_u32_e32 v7, 0xb6, v3
	v_add_nc_u32_e32 v10, 0x16c, v3
	;; [unrolled: 1-line block ×3, first 2 shown]
; %bb.11:
	s_wait_alu 0xfffe
	s_or_saveexec_b32 s1, s0
	s_add_nc_u64 s[2:3], s[14:15], s[10:11]
	s_wait_alu 0xfffe
	s_xor_b32 exec_lo, exec_lo, s1
	s_cbranch_execz .LBB0_13
; %bb.12:
	s_add_nc_u64 s[10:11], s[12:13], s[10:11]
	s_load_b64 s[10:11], s[10:11], 0x0
	s_wait_kmcnt 0x0
	v_mul_lo_u32 v3, s11, v5
	v_mul_lo_u32 v9, s10, v6
	v_mad_co_u64_u32 v[7:8], null, s10, v5, 0
	s_delay_alu instid0(VALU_DEP_1) | instskip(SKIP_2) | instid1(VALU_DEP_3)
	v_add3_u32 v8, v8, v9, v3
	v_mul_u32_u24_e32 v3, 0xb6, v4
	v_lshlrev_b64_e32 v[9:10], 2, v[11:12]
	v_lshlrev_b64_e32 v[7:8], 2, v[7:8]
	s_delay_alu instid0(VALU_DEP_3) | instskip(NEXT) | instid1(VALU_DEP_1)
	v_sub_nc_u32_e32 v3, v0, v3
	v_lshlrev_b32_e32 v11, 2, v3
	s_delay_alu instid0(VALU_DEP_3) | instskip(SKIP_1) | instid1(VALU_DEP_4)
	v_add_co_u32 v0, s0, s4, v7
	s_wait_alu 0xf1ff
	v_add_co_ci_u32_e64 v4, s0, s5, v8, s0
	s_delay_alu instid0(VALU_DEP_2) | instskip(SKIP_1) | instid1(VALU_DEP_2)
	v_add_co_u32 v0, s0, v0, v9
	s_wait_alu 0xf1ff
	v_add_co_ci_u32_e64 v4, s0, v4, v10, s0
	v_add_nc_u32_e32 v10, 0x16c, v3
	s_delay_alu instid0(VALU_DEP_3) | instskip(SKIP_1) | instid1(VALU_DEP_3)
	v_add_co_u32 v7, s0, v0, v11
	s_wait_alu 0xf1ff
	v_add_co_ci_u32_e64 v8, s0, 0, v4, s0
	s_clause 0x6
	global_load_b32 v0, v[7:8], off
	global_load_b32 v4, v[7:8], off offset:728
	global_load_b32 v12, v[7:8], off offset:1456
	;; [unrolled: 1-line block ×6, first 2 shown]
	v_add_nc_u32_e32 v11, 0, v11
	v_add_nc_u32_e32 v7, 0xb6, v3
	;; [unrolled: 1-line block ×3, first 2 shown]
	s_delay_alu instid0(VALU_DEP_3)
	v_add_nc_u32_e32 v16, 0x500, v11
	v_add_nc_u32_e32 v17, 0xb00, v11
	s_wait_loadcnt 0x5
	ds_store_2addr_b32 v11, v0, v4 offset1:182
	s_wait_loadcnt 0x3
	ds_store_2addr_b32 v16, v12, v13 offset0:44 offset1:226
	s_wait_loadcnt 0x1
	ds_store_2addr_b32 v17, v14, v15 offset0:24 offset1:206
	s_wait_loadcnt 0x0
	ds_store_b32 v11, v8 offset:4368
.LBB0_13:
	s_or_b32 exec_lo, exec_lo, s1
	v_lshlrev_b32_e32 v4, 2, v3
	s_load_b64 s[2:3], s[2:3], 0x0
	global_wb scope:SCOPE_SE
	s_wait_dscnt 0x0
	s_wait_kmcnt 0x0
	s_barrier_signal -1
	s_barrier_wait -1
	v_add_nc_u32_e32 v0, 0, v4
	global_inv scope:SCOPE_SE
	v_cmp_gt_u32_e64 s0, 0x5b, v3
	v_lshl_add_u32 v21, v7, 3, 0
	v_lshl_add_u32 v22, v10, 3, 0
	v_add_nc_u32_e32 v8, 0x900, v0
	v_add_nc_u32_e32 v11, 0xf00, v0
	;; [unrolled: 1-line block ×3, first 2 shown]
	ds_load_2addr_b32 v[14:15], v0 offset1:182
	ds_load_2addr_b32 v[12:13], v8 offset0:61 offset1:243
	v_add_nc_u32_e32 v8, 0x500, v0
	ds_load_2addr_b32 v[19:20], v8 offset0:44 offset1:226
	ds_load_2addr_b32 v[16:17], v11 offset0:41 offset1:223
	global_wb scope:SCOPE_SE
	s_wait_dscnt 0x0
	s_barrier_signal -1
	s_barrier_wait -1
	global_inv scope:SCOPE_SE
	v_lshrrev_b32_e32 v8, 16, v14
	v_pk_add_f16 v12, v14, v12 neg_lo:[0,1] neg_hi:[0,1]
	v_pk_add_f16 v18, v15, v13 neg_lo:[0,1] neg_hi:[0,1]
	s_delay_alu instid0(VALU_DEP_2)
	v_lshrrev_b32_e32 v36, 16, v12
	v_fma_f16 v11, v14, 2.0, -v12
	v_pk_add_f16 v16, v19, v16 neg_lo:[0,1] neg_hi:[0,1]
	v_pk_add_f16 v14, v20, v17 neg_lo:[0,1] neg_hi:[0,1]
	v_pk_fma_f16 v17, v15, 2.0, v18 op_sel_hi:[1,0,1] neg_lo:[0,0,1] neg_hi:[0,0,1]
	v_fma_f16 v8, v8, 2.0, -v36
	v_and_b32_e32 v11, 0xffff, v11
	v_pk_fma_f16 v15, v19, 2.0, v16 op_sel_hi:[1,0,1] neg_lo:[0,0,1] neg_hi:[0,0,1]
	v_pk_fma_f16 v13, v20, 2.0, v14 op_sel_hi:[1,0,1] neg_lo:[0,0,1] neg_hi:[0,0,1]
	s_delay_alu instid0(VALU_DEP_4) | instskip(NEXT) | instid1(VALU_DEP_1)
	v_lshlrev_b32_e32 v8, 16, v8
	v_or_b32_e32 v11, v8, v11
	ds_store_2addr_b32 v23, v11, v12 offset1:1
	ds_store_2addr_b32 v21, v17, v18 offset1:1
	;; [unrolled: 1-line block ×3, first 2 shown]
	s_and_saveexec_b32 s1, s0
	s_cbranch_execz .LBB0_15
; %bb.14:
	v_lshl_add_u32 v8, v9, 3, 0
	ds_store_2addr_b32 v8, v13, v14 offset1:1
.LBB0_15:
	s_wait_alu 0xfffe
	s_or_b32 exec_lo, exec_lo, s1
	v_cmp_gt_u32_e64 s1, 0x62, v3
	v_lshrrev_b32_e32 v37, 16, v13
	v_lshrrev_b32_e32 v42, 16, v14
	;; [unrolled: 1-line block ×6, first 2 shown]
	global_wb scope:SCOPE_SE
	s_wait_dscnt 0x0
	s_barrier_signal -1
	s_barrier_wait -1
	global_inv scope:SCOPE_SE
                                        ; implicit-def: $vgpr40
                                        ; implicit-def: $vgpr38
                                        ; implicit-def: $vgpr49
                                        ; implicit-def: $vgpr22
                                        ; implicit-def: $vgpr48
                                        ; implicit-def: $vgpr46
                                        ; implicit-def: $vgpr20
                                        ; implicit-def: $vgpr45
	s_and_saveexec_b32 s4, s1
	s_cbranch_execz .LBB0_17
; %bb.16:
	v_add_nc_u32_e32 v8, 0xc00, v0
	v_add_nc_u32_e32 v13, 0xe00, v0
	;; [unrolled: 1-line block ×3, first 2 shown]
	ds_load_2addr_b32 v[11:12], v0 offset1:98
	ds_load_b32 v38, v0 offset:4704
	ds_load_2addr_b32 v[19:20], v8 offset0:16 offset1:114
	v_add_nc_u32_e32 v8, 0x400, v0
	ds_load_2addr_b32 v[21:22], v13 offset0:84 offset1:182
	v_add_nc_u32_e32 v13, 0x800, v0
	ds_load_2addr_b32 v[17:18], v14 offset0:68 offset1:166
	ds_load_2addr_b32 v[15:16], v8 offset0:136 offset1:234
	;; [unrolled: 1-line block ×3, first 2 shown]
	s_wait_dscnt 0x6
	v_lshrrev_b32_e32 v36, 16, v12
	s_wait_dscnt 0x5
	v_lshrrev_b32_e32 v40, 16, v38
	;; [unrolled: 2-line block ×3, first 2 shown]
	v_lshrrev_b32_e32 v46, 16, v20
	s_wait_dscnt 0x3
	v_lshrrev_b32_e32 v48, 16, v21
	v_lshrrev_b32_e32 v49, 16, v22
	s_wait_dscnt 0x2
	v_lshrrev_b32_e32 v39, 16, v17
	;; [unrolled: 3-line block ×4, first 2 shown]
	v_lshrrev_b32_e32 v42, 16, v14
.LBB0_17:
	s_wait_alu 0xfffe
	s_or_b32 exec_lo, exec_lo, s4
	global_wb scope:SCOPE_SE
	s_barrier_signal -1
	s_barrier_wait -1
	global_inv scope:SCOPE_SE
	s_and_saveexec_b32 s4, s1
	s_cbranch_execz .LBB0_19
; %bb.18:
	v_and_b32_e32 v8, 1, v3
	v_lshrrev_b32_e32 v25, 16, v11
	s_delay_alu instid0(VALU_DEP_2) | instskip(NEXT) | instid1(VALU_DEP_1)
	v_mul_u32_u24_e32 v23, 12, v8
	v_lshlrev_b32_e32 v23, 2, v23
	s_clause 0x2
	global_load_b128 v[50:53], v23, s[8:9]
	global_load_b128 v[54:57], v23, s[8:9] offset:16
	global_load_b128 v[58:61], v23, s[8:9] offset:32
	s_wait_loadcnt 0x2
	v_lshrrev_b32_e32 v24, 16, v50
	v_lshrrev_b32_e32 v26, 16, v51
	s_wait_loadcnt 0x0
	v_lshrrev_b32_e32 v28, 16, v61
	v_lshrrev_b32_e32 v27, 16, v52
	;; [unrolled: 1-line block ×6, first 2 shown]
	v_mul_f16_e32 v23, v38, v28
	v_mul_f16_e32 v29, v12, v24
	v_lshrrev_b32_e32 v31, 16, v53
	v_lshrrev_b32_e32 v41, 16, v55
	;; [unrolled: 1-line block ×4, first 2 shown]
	v_mul_f16_e32 v63, v36, v24
	v_mul_f16_e32 v64, v40, v28
	;; [unrolled: 1-line block ×12, first 2 shown]
	v_fmac_f16_e32 v23, v40, v61
	v_fmac_f16_e32 v29, v36, v50
	v_mul_f16_e32 v65, v39, v26
	v_mul_f16_e32 v26, v21, v32
	;; [unrolled: 1-line block ×10, first 2 shown]
	v_fma_f16 v41, v12, v50, -v63
	v_fma_f16 v12, v38, v61, -v64
	v_fmac_f16_e32 v24, v49, v60
	v_fmac_f16_e32 v28, v39, v51
	;; [unrolled: 1-line block ×3, first 2 shown]
	v_add_f16_e32 v42, v29, v23
	v_fma_f16 v40, v17, v51, -v65
	v_fma_f16 v17, v22, v60, -v66
	v_fmac_f16_e32 v32, v43, v53
	v_fma_f16 v38, v15, v53, -v69
	v_fmac_f16_e32 v35, v37, v55
	v_sub_f16_e32 v49, v41, v12
	v_add_f16_e32 v37, v28, v24
	v_sub_f16_e32 v53, v29, v23
	v_mul_f16_e32 v61, 0xbbc4, v42
	v_fma_f16 v39, v18, v52, -v67
	v_fma_f16 v18, v21, v59, -v68
	v_fmac_f16_e32 v31, v45, v57
	v_fma_f16 v22, v16, v54, -v71
	v_fma_f16 v16, v19, v57, -v72
	v_fma_f16 v21, v13, v55, -v73
	v_fma_f16 v19, v14, v56, -v62
	v_sub_f16_e32 v50, v40, v17
	v_add_f16_e32 v45, v41, v12
	v_sub_f16_e32 v55, v28, v24
	v_mul_f16_e32 v62, 0x3b15, v37
	v_mul_f16_e32 v65, 0xb3a8, v53
	v_fmamk_f16 v113, v49, 0x33a8, v61
	v_fmac_f16_e32 v26, v48, v59
	v_fmac_f16_e32 v30, v47, v52
	;; [unrolled: 1-line block ×3, first 2 shown]
	v_add_f16_e32 v44, v40, v17
	v_mul_f16_e32 v66, 0x3770, v55
	v_mul_f16_e32 v69, 0xb94e, v49
	;; [unrolled: 1-line block ×3, first 2 shown]
	v_fmamk_f16 v114, v50, 0xb770, v62
	v_fmamk_f16 v115, v45, 0xbbc4, v65
	v_add_f16_e32 v113, v113, v25
	v_fmac_f16_e32 v27, v46, v58
	v_fma_f16 v15, v20, v58, -v70
	v_add_f16_e32 v20, v30, v26
	v_sub_f16_e32 v52, v30, v26
	v_mul_f16_e32 v70, 0x3bf1, v50
	v_mul_f16_e32 v71, 0xb94e, v53
	;; [unrolled: 1-line block ×6, first 2 shown]
	v_fmamk_f16 v116, v44, 0x3b15, v66
	v_fmac_f16_e32 v61, 0xb3a8, v49
	v_fma_f16 v49, v45, 0xbbc4, -v65
	v_fmamk_f16 v65, v42, 0xb9fd, v69
	v_add_f16_e32 v115, v115, v11
	v_add_f16_e32 v113, v114, v113
	v_fmamk_f16 v114, v42, 0x2fb7, v77
	v_fma_f16 v77, v42, 0x2fb7, -v77
	v_sub_f16_e32 v48, v39, v18
	v_add_f16_e32 v14, v32, v27
	v_add_f16_e32 v43, v39, v18
	v_mul_f16_e32 v63, 0xb9fd, v20
	v_mul_f16_e32 v67, 0xb94e, v52
	;; [unrolled: 1-line block ×7, first 2 shown]
	v_fmac_f16_e32 v62, 0x3770, v50
	v_fma_f16 v50, v44, 0x3b15, -v66
	v_fmamk_f16 v66, v37, 0x2fb7, v70
	v_fma_f16 v117, v45, 0xb9fd, -v71
	v_fmamk_f16 v119, v42, 0xb5ac, v73
	v_add_f16_e32 v61, v61, v25
	v_add_f16_e32 v115, v116, v115
	v_fmamk_f16 v116, v37, 0xbbc4, v78
	v_add_f16_e32 v65, v65, v25
	v_fma_f16 v78, v37, 0xbbc4, -v78
	v_add_f16_e32 v77, v77, v25
	v_sub_f16_e32 v47, v38, v15
	v_mul_f16_e32 v64, 0x388b, v14
	v_mul_f16_e32 v76, 0x394e, v55
	;; [unrolled: 1-line block ×6, first 2 shown]
	v_fma_f16 v118, v44, 0x2fb7, -v72
	v_fmamk_f16 v120, v37, 0xb9fd, v74
	v_fma_f16 v121, v45, 0xb5ac, -v75
	v_fmamk_f16 v122, v48, 0x394e, v63
	v_fmac_f16_e32 v63, 0xb94e, v48
	v_add_f16_e32 v49, v49, v11
	v_add_f16_e32 v61, v62, v61
	;; [unrolled: 1-line block ×5, first 2 shown]
	v_fmamk_f16 v66, v42, 0x388b, v81
	v_fmac_f16_e32 v75, 0xb5ac, v45
	v_add_f16_e32 v77, v78, v77
	v_fmamk_f16 v78, v43, 0xb9fd, v67
	v_sub_f16_e32 v51, v32, v27
	v_mul_f16_e32 v80, 0xb3a8, v55
	v_mul_f16_e32 v84, 0xbb7b, v55
	;; [unrolled: 1-line block ×13, first 2 shown]
	v_fmamk_f16 v48, v47, 0xba95, v64
	v_fmac_f16_e32 v64, 0x3a95, v47
	v_fma_f16 v47, v44, 0xb9fd, -v76
	v_fma_f16 v62, v45, 0x2fb7, -v79
	v_add_f16_e32 v49, v50, v49
	v_add_f16_e32 v121, v121, v11
	;; [unrolled: 1-line block ×3, first 2 shown]
	v_fmamk_f16 v118, v37, 0xb5ac, v82
	v_add_f16_e32 v119, v120, v119
	v_fma_f16 v120, v45, 0x388b, -v83
	v_add_f16_e32 v114, v114, v25
	v_add_f16_e32 v66, v66, v25
	v_fma_f16 v69, v42, 0xb9fd, -v69
	v_fmac_f16_e32 v76, 0xb9fd, v44
	v_add_f16_e32 v75, v75, v11
	v_fma_f16 v67, v43, 0xb9fd, -v67
	v_add_f16_e32 v78, v78, v115
	v_fmamk_f16 v115, v20, 0x388b, v87
	v_add_f16_e32 v61, v63, v61
	v_fma_f16 v63, v43, 0x388b, -v88
	v_add_f16_e32 v36, v38, v15
	v_mul_f16_e32 v68, 0x3a95, v51
	v_mul_f16_e32 v55, 0xba95, v55
	;; [unrolled: 1-line block ×4, first 2 shown]
	v_fma_f16 v50, v44, 0xbbc4, -v80
	v_add_f16_e32 v47, v47, v121
	v_fma_f16 v121, v44, 0xb5ac, -v84
	v_add_f16_e32 v62, v62, v11
	v_add_f16_e32 v114, v116, v114
	;; [unrolled: 1-line block ×4, first 2 shown]
	v_fma_f16 v118, v45, 0x3b15, -v53
	v_fma_f16 v70, v37, 0x2fb7, -v70
	v_add_f16_e32 v69, v69, v25
	v_add_f16_e32 v75, v76, v75
	;; [unrolled: 1-line block ×3, first 2 shown]
	v_fmamk_f16 v67, v20, 0x3b15, v89
	v_add_f16_e32 v65, v115, v65
	v_fma_f16 v115, v43, 0x3b15, -v90
	v_add_f16_e32 v63, v63, v117
	v_fmamk_f16 v117, v20, 0xb5ac, v91
	v_fmac_f16_e32 v90, 0x3b15, v43
	v_add_f16_e32 v29, v29, v25
	v_add_f16_e32 v41, v41, v11
	v_sub_f16_e32 v46, v22, v16
	v_sub_f16_e32 v58, v33, v31
	v_mul_f16_e32 v52, 0xbbf1, v52
	v_mul_f16_e32 v99, 0xbbf1, v51
	;; [unrolled: 1-line block ×3, first 2 shown]
	v_add_f16_e32 v50, v50, v62
	v_add_f16_e32 v120, v121, v120
	v_fma_f16 v121, v44, 0x388b, -v55
	v_add_f16_e32 v118, v118, v11
	v_add_f16_e32 v69, v70, v69
	;; [unrolled: 1-line block ×3, first 2 shown]
	v_fma_f16 v119, v43, 0xb5ac, -v92
	v_add_f16_e32 v114, v117, v114
	v_fma_f16 v117, v43, 0xbbc4, -v94
	v_fma_f16 v87, v20, 0x388b, -v87
	;; [unrolled: 1-line block ×3, first 2 shown]
	v_add_f16_e32 v75, v90, v75
	v_fmamk_f16 v90, v36, 0x388b, v68
	v_fma_f16 v68, v36, 0x388b, -v68
	v_add_f16_e32 v28, v29, v28
	v_add_f16_e32 v29, v41, v40
	;; [unrolled: 1-line block ×4, first 2 shown]
	v_sub_f16_e32 v59, v21, v19
	v_mul_f16_e32 v97, 0x33a8, v51
	v_mul_f16_e32 v103, 0x394e, v51
	;; [unrolled: 1-line block ×5, first 2 shown]
	v_fmamk_f16 v116, v42, 0x3b15, v85
	v_add_f16_e32 v118, v121, v118
	v_fma_f16 v73, v42, 0xb5ac, -v73
	v_add_f16_e32 v47, v115, v47
	v_add_f16_e32 v50, v119, v50
	;; [unrolled: 1-line block ×3, first 2 shown]
	v_fma_f16 v120, v43, 0x2fb7, -v52
	v_add_f16_e32 v69, v87, v69
	v_add_f16_e32 v77, v91, v77
	v_fmamk_f16 v91, v14, 0xbbc4, v96
	v_add_f16_e32 v78, v90, v78
	v_fma_f16 v90, v36, 0x2fb7, -v99
	v_add_f16_e32 v61, v64, v61
	v_fmamk_f16 v64, v14, 0x3b15, v100
	v_add_f16_e32 v49, v68, v49
	v_fma_f16 v68, v36, 0x3b15, -v101
	v_fma_f16 v96, v14, 0xbbc4, -v96
	v_add_f16_e32 v28, v28, v30
	v_add_f16_e32 v29, v29, v39
	;; [unrolled: 1-line block ×3, first 2 shown]
	v_sub_f16_e32 v60, v35, v34
	v_mul_f16_e32 v105, 0xb5ac, v13
	v_mul_f16_e32 v111, 0xba95, v46
	v_fmamk_f16 v62, v37, 0x388b, v86
	v_add_f16_e32 v116, v116, v25
	v_fma_f16 v74, v37, 0xb9fd, -v74
	v_add_f16_e32 v73, v73, v25
	v_fmac_f16_e32 v79, 0x2fb7, v45
	v_mul_f16_e32 v76, 0xbb7b, v59
	v_add_f16_e32 v113, v122, v113
	v_add_f16_e32 v118, v120, v118
	;; [unrolled: 1-line block ×3, first 2 shown]
	v_fma_f16 v90, v36, 0xb5ac, -v51
	v_fma_f16 v100, v14, 0x3b15, -v100
	v_add_f16_e32 v64, v64, v114
	v_fmamk_f16 v114, v54, 0xb5ac, v106
	v_add_f16_e32 v50, v68, v50
	v_fmamk_f16 v68, v13, 0x3b15, v107
	v_add_f16_e32 v69, v96, v69
	v_fma_f16 v107, v13, 0x3b15, -v107
	v_add_f16_e32 v28, v28, v32
	v_add_f16_e32 v29, v29, v38
	;; [unrolled: 1-line block ×4, first 2 shown]
	v_fmamk_f16 v70, v46, 0x3b7b, v105
	v_add_f16_e32 v73, v74, v73
	v_mul_f16_e32 v74, 0x3bf1, v60
	v_fmac_f16_e32 v80, 0xbbc4, v44
	v_add_f16_e32 v79, v79, v11
	v_fmamk_f16 v119, v20, 0x2fb7, v95
	v_add_f16_e32 v48, v48, v113
	v_add_f16_e32 v90, v90, v118
	v_fmamk_f16 v118, v13, 0x388b, v111
	v_add_f16_e32 v77, v100, v77
	v_add_f16_e32 v78, v114, v78
	v_fmamk_f16 v114, v56, 0xb5ac, v76
	v_fma_f16 v76, v56, 0xb5ac, -v76
	v_fma_f16 v111, v13, 0x388b, -v111
	v_add_f16_e32 v69, v107, v69
	v_add_f16_e32 v28, v28, v33
	;; [unrolled: 1-line block ×5, first 2 shown]
	v_mul_f16_e32 v119, 0xb94e, v59
	v_fmac_f16_e32 v92, 0xb5ac, v43
	v_fma_f16 v106, v54, 0xb5ac, -v106
	v_add_f16_e32 v48, v70, v48
	v_fmamk_f16 v70, v57, 0x2fb7, v74
	v_add_f16_e32 v69, v76, v69
	v_add_f16_e32 v76, v111, v77
	v_fma_f16 v77, v42, 0x388b, -v81
	v_fma_f16 v29, v42, 0x3b15, -v85
	v_add_f16_e32 v28, v28, v35
	v_add_f16_e32 v21, v22, v21
	v_fmac_f16_e32 v71, 0xb9fd, v45
	v_add_f16_e32 v79, v92, v79
	v_fma_f16 v74, v57, 0x2fb7, -v74
	v_add_f16_e32 v49, v106, v49
	v_fmac_f16_e32 v101, 0x3b15, v36
	v_add_f16_e32 v70, v70, v78
	v_fma_f16 v78, v56, 0xb9fd, -v119
	v_add_f16_e32 v77, v77, v25
	v_add_f16_e32 v22, v29, v25
	v_fma_f16 v25, v37, 0x388b, -v86
	v_add_f16_e32 v28, v28, v34
	v_add_f16_e32 v19, v21, v19
	v_fmac_f16_e32 v72, 0x2fb7, v44
	v_add_f16_e32 v71, v71, v11
	v_fmamk_f16 v115, v20, 0xbbc4, v93
	v_fma_f16 v89, v20, 0x3b15, -v89
	v_add_f16_e32 v49, v74, v49
	v_add_f16_e32 v74, v101, v79
	v_fma_f16 v79, v37, 0xb5ac, -v82
	v_add_f16_e32 v76, v78, v76
	v_fma_f16 v78, v20, 0xbbc4, -v93
	;; [unrolled: 2-line block ×3, first 2 shown]
	v_add_f16_e32 v22, v28, v31
	v_add_f16_e32 v16, v19, v16
	v_fmac_f16_e32 v83, 0x388b, v45
	v_fmac_f16_e32 v53, 0x3b15, v45
	v_add_f16_e32 v71, v72, v71
	v_fmac_f16_e32 v88, 0x388b, v43
	v_fma_f16 v92, v36, 0xbbc4, -v97
	v_fmamk_f16 v113, v14, 0x2fb7, v98
	v_add_f16_e32 v77, v79, v77
	v_add_f16_e32 v19, v20, v21
	;; [unrolled: 1-line block ×5, first 2 shown]
	v_fmac_f16_e32 v84, 0xb5ac, v44
	v_add_f16_e32 v11, v53, v11
	v_fmac_f16_e32 v55, 0x388b, v44
	v_mul_f16_e32 v108, 0x3770, v58
	v_mul_f16_e32 v109, 0x33a8, v46
	;; [unrolled: 1-line block ×6, first 2 shown]
	v_fmac_f16_e32 v105, 0xbb7b, v46
	v_mul_f16_e32 v46, 0xb94e, v46
	v_mul_f16_e32 v58, 0xb94e, v58
	;; [unrolled: 1-line block ×3, first 2 shown]
	v_add_f16_e32 v66, v115, v66
	v_add_f16_e32 v71, v88, v71
	;; [unrolled: 1-line block ×3, first 2 shown]
	v_fmamk_f16 v91, v14, 0xb9fd, v102
	v_add_f16_e32 v63, v92, v63
	v_fma_f16 v92, v36, 0xb9fd, -v103
	v_add_f16_e32 v67, v113, v67
	v_fmamk_f16 v113, v14, 0xb5ac, v104
	v_fmac_f16_e32 v97, 0xbbc4, v36
	v_fma_f16 v98, v14, 0x2fb7, -v98
	v_fmac_f16_e32 v99, 0x2fb7, v36
	v_add_f16_e32 v77, v78, v77
	v_fma_f16 v78, v14, 0xb9fd, -v102
	v_fma_f16 v14, v14, 0xb5ac, -v104
	v_add_f16_e32 v16, v20, v26
	v_add_f16_e32 v15, v15, v18
	;; [unrolled: 1-line block ×4, first 2 shown]
	v_fmac_f16_e32 v94, 0xbbc4, v43
	v_add_f16_e32 v11, v55, v11
	v_fmac_f16_e32 v52, 0x2fb7, v43
	v_mul_f16_e32 v80, 0xbb7b, v60
	v_mul_f16_e32 v122, 0x3a95, v59
	v_mul_f16_e32 v115, 0x3a95, v60
	v_mul_f16_e32 v120, 0xb94e, v60
	v_mul_f16_e32 v87, 0x3770, v59
	v_mul_f16_e32 v88, 0x3770, v60
	v_fmamk_f16 v89, v59, 0xbbf1, v72
	v_fmac_f16_e32 v72, 0x3bf1, v59
	v_mul_f16_e32 v59, 0xb3a8, v59
	v_mul_f16_e32 v60, 0xb3a8, v60
	v_add_f16_e32 v66, v91, v66
	v_add_f16_e32 v92, v92, v117
	v_fmamk_f16 v117, v13, 0xbbc4, v109
	v_add_f16_e32 v62, v113, v62
	v_fma_f16 v96, v54, 0x388b, -v112
	v_add_f16_e32 v71, v97, v71
	v_fmamk_f16 v97, v13, 0x2fb7, v116
	v_add_f16_e32 v75, v99, v75
	v_fmamk_f16 v99, v13, 0xb9fd, v46
	v_fma_f16 v100, v54, 0xb9fd, -v58
	v_fma_f16 v109, v13, 0xbbc4, -v109
	;; [unrolled: 1-line block ×3, first 2 shown]
	v_add_f16_e32 v14, v14, v19
	v_fma_f16 v13, v13, 0xb9fd, -v46
	v_add_f16_e32 v16, v16, v24
	v_add_f16_e32 v15, v15, v17
	v_lshrrev_b32_e32 v17, 1, v3
	v_fma_f16 v91, v54, 0x3b15, -v108
	v_fma_f16 v113, v54, 0xbbc4, -v110
	v_add_f16_e32 v73, v98, v73
	v_fma_f16 v98, v54, 0x2fb7, -v121
	v_add_f16_e32 v30, v94, v79
	v_fmac_f16_e32 v103, 0xb9fd, v36
	v_add_f16_e32 v11, v52, v11
	v_fmac_f16_e32 v51, 0xb5ac, v36
	v_add_f16_e32 v61, v105, v61
	v_add_f16_e32 v50, v96, v50
	v_fmamk_f16 v96, v56, 0xbbc4, v59
	v_add_f16_e32 v66, v97, v66
	v_fma_f16 v97, v57, 0xbbc4, -v60
	v_add_f16_e32 v62, v99, v62
	v_add_f16_e32 v90, v100, v90
	;; [unrolled: 1-line block ×5, first 2 shown]
	v_mul_u32_u24_e32 v15, 26, v17
	v_add_f16_e32 v65, v68, v65
	v_fma_f16 v68, v57, 0x388b, -v115
	v_add_f16_e32 v63, v91, v63
	v_fmamk_f16 v91, v56, 0xb9fd, v119
	v_add_f16_e32 v67, v117, v67
	v_fma_f16 v117, v57, 0xb9fd, -v120
	v_add_f16_e32 v47, v113, v47
	v_fmamk_f16 v113, v56, 0x3b15, v87
	v_add_f16_e32 v64, v118, v64
	v_fma_f16 v118, v57, 0x3b15, -v88
	v_add_f16_e32 v92, v98, v92
	v_fmac_f16_e32 v108, 0x3b15, v54
	v_fmac_f16_e32 v110, 0xbbc4, v54
	;; [unrolled: 1-line block ×3, first 2 shown]
	v_add_f16_e32 v40, v78, v77
	v_add_f16_e32 v30, v103, v30
	v_fmac_f16_e32 v121, 0x2fb7, v54
	v_add_f16_e32 v11, v51, v11
	v_fmac_f16_e32 v58, 0xb9fd, v54
	v_fma_f16 v105, v57, 0xb5ac, -v80
	v_fmamk_f16 v106, v56, 0x388b, v122
	v_add_f16_e32 v61, v72, v61
	v_add_f16_e32 v62, v96, v62
	;; [unrolled: 1-line block ×3, first 2 shown]
	v_lshlrev_b32_e32 v14, 16, v14
	v_and_b32_e32 v12, 0xffff, v12
	v_or_b32_e32 v8, v15, v8
	v_add_f16_e32 v47, v68, v47
	v_add_f16_e32 v64, v91, v64
	;; [unrolled: 1-line block ×5, first 2 shown]
	v_fmac_f16_e32 v80, 0xb5ac, v57
	v_fma_f16 v122, v56, 0x388b, -v122
	v_add_f16_e32 v71, v108, v71
	v_add_f16_e32 v73, v109, v73
	v_add_f16_e32 v75, v110, v75
	v_fmac_f16_e32 v115, 0x388b, v57
	v_add_f16_e32 v74, v112, v74
	v_fmac_f16_e32 v120, 0xb9fd, v57
	v_add_f16_e32 v39, v41, v40
	v_fma_f16 v32, v56, 0x3b15, -v87
	v_add_f16_e32 v30, v121, v30
	v_fmac_f16_e32 v88, 0x3b15, v57
	v_fma_f16 v15, v56, 0xbbc4, -v59
	v_add_f16_e32 v11, v58, v11
	v_fmac_f16_e32 v60, 0xbbc4, v57
	v_add_f16_e32 v65, v114, v65
	v_add_f16_e32 v63, v105, v63
	;; [unrolled: 1-line block ×3, first 2 shown]
	v_or_b32_e32 v12, v14, v12
	v_lshl_add_u32 v8, v8, 2, 0
	v_pack_b32_f16 v14, v72, v62
	v_add_f16_e32 v48, v89, v48
	v_pack_b32_f16 v16, v68, v66
	v_pack_b32_f16 v17, v50, v64
	v_add_f16_e32 v71, v80, v71
	v_add_f16_e32 v73, v122, v73
	;; [unrolled: 1-line block ×8, first 2 shown]
	ds_store_2addr_b32 v8, v12, v14 offset1:2
	ds_store_2addr_b32 v8, v16, v17 offset0:4 offset1:6
	v_pack_b32_f16 v12, v47, v67
	v_pack_b32_f16 v14, v63, v65
	v_pack_b32_f16 v15, v49, v61
	v_pack_b32_f16 v16, v70, v48
	v_pack_b32_f16 v17, v71, v69
	v_pack_b32_f16 v19, v75, v73
	v_pack_b32_f16 v20, v74, v76
	v_pack_b32_f16 v18, v18, v32
	v_pack_b32_f16 v11, v11, v13
	ds_store_2addr_b32 v8, v12, v14 offset0:8 offset1:10
	ds_store_2addr_b32 v8, v15, v16 offset0:12 offset1:14
	;; [unrolled: 1-line block ×4, first 2 shown]
	ds_store_b32 v8, v11 offset:96
.LBB0_19:
	s_wait_alu 0xfffe
	s_or_b32 exec_lo, exec_lo, s4
	v_and_b32_e32 v8, 0xff, v3
	global_wb scope:SCOPE_SE
	s_wait_dscnt 0x0
	s_barrier_signal -1
	s_barrier_wait -1
	global_inv scope:SCOPE_SE
	v_mul_lo_u16 v8, 0x4f, v8
	v_lshl_add_u32 v14, v7, 2, 0
	v_lshl_add_u32 v13, v10, 2, 0
	;; [unrolled: 1-line block ×3, first 2 shown]
	v_mul_u32_u24_e32 v29, 6, v3
	v_lshrrev_b16 v11, 11, v8
	s_mov_b32 s4, exec_lo
	s_delay_alu instid0(VALU_DEP_2) | instskip(NEXT) | instid1(VALU_DEP_2)
	v_lshlrev_b32_e32 v29, 2, v29
	v_mul_lo_u16 v8, v11, 26
	v_and_b32_e32 v11, 0xffff, v11
	s_delay_alu instid0(VALU_DEP_2) | instskip(NEXT) | instid1(VALU_DEP_2)
	v_sub_nc_u16 v8, v3, v8
	v_mul_u32_u24_e32 v11, 0x2d8, v11
	s_delay_alu instid0(VALU_DEP_2) | instskip(NEXT) | instid1(VALU_DEP_1)
	v_and_b32_e32 v23, 0xff, v8
	v_mul_u32_u24_e32 v8, 6, v23
	v_lshlrev_b32_e32 v23, 2, v23
	s_delay_alu instid0(VALU_DEP_2) | instskip(NEXT) | instid1(VALU_DEP_2)
	v_lshlrev_b32_e32 v8, 2, v8
	v_add3_u32 v11, 0, v11, v23
	s_clause 0x1
	global_load_b128 v[15:18], v8, s[8:9] offset:96
	global_load_b64 v[19:20], v8, s[8:9] offset:112
	v_add_nc_u32_e32 v8, 0xb00, v0
	ds_load_b32 v24, v0
	ds_load_b32 v25, v14
	;; [unrolled: 1-line block ×4, first 2 shown]
	ds_load_2addr_b32 v[21:22], v8 offset0:24 offset1:206
	ds_load_b32 v28, v0 offset:4368
	global_wb scope:SCOPE_SE
	s_wait_loadcnt_dscnt 0x0
	s_barrier_signal -1
	s_barrier_wait -1
	global_inv scope:SCOPE_SE
	v_lshrrev_b32_e32 v31, 16, v25
	v_lshrrev_b32_e32 v32, 16, v26
	;; [unrolled: 1-line block ×13, first 2 shown]
	v_mul_f16_e32 v42, v23, v31
	v_mul_f16_e32 v23, v23, v25
	;; [unrolled: 1-line block ×12, first 2 shown]
	v_fma_f16 v25, v15, v25, -v42
	v_fmac_f16_e32 v23, v15, v31
	v_fma_f16 v15, v16, v26, -v43
	v_fmac_f16_e32 v37, v16, v32
	;; [unrolled: 2-line block ×3, first 2 shown]
	v_fma_f16 v17, v18, v21, -v45
	v_fma_f16 v21, v20, v28, -v47
	v_fmac_f16_e32 v41, v20, v36
	v_fmac_f16_e32 v39, v18, v34
	v_fma_f16 v18, v19, v22, -v46
	v_fmac_f16_e32 v40, v19, v35
	v_add_f16_e32 v19, v25, v21
	v_add_f16_e32 v20, v23, v41
	v_sub_f16_e32 v21, v25, v21
	v_sub_f16_e32 v22, v23, v41
	v_add_f16_e32 v23, v15, v18
	v_add_f16_e32 v25, v37, v40
	v_sub_f16_e32 v15, v15, v18
	v_sub_f16_e32 v18, v37, v40
	v_add_f16_e32 v26, v16, v17
	v_add_f16_e32 v27, v38, v39
	v_sub_f16_e32 v16, v17, v16
	v_sub_f16_e32 v17, v39, v38
	v_add_f16_e32 v28, v23, v19
	v_add_f16_e32 v31, v25, v20
	v_sub_f16_e32 v32, v23, v19
	v_sub_f16_e32 v33, v25, v20
	v_sub_f16_e32 v19, v19, v26
	v_sub_f16_e32 v20, v20, v27
	;; [unrolled: 1-line block ×4, first 2 shown]
	v_add_f16_e32 v34, v16, v15
	v_add_f16_e32 v35, v17, v18
	v_sub_f16_e32 v36, v16, v15
	v_sub_f16_e32 v37, v17, v18
	;; [unrolled: 1-line block ×3, first 2 shown]
	v_add_f16_e32 v26, v26, v28
	v_add_f16_e32 v27, v27, v31
	v_sub_f16_e32 v15, v15, v21
	v_sub_f16_e32 v16, v21, v16
	;; [unrolled: 1-line block ×3, first 2 shown]
	v_add_f16_e32 v21, v34, v21
	v_add_f16_e32 v22, v35, v22
	v_mul_f16_e32 v19, 0x3a52, v19
	v_mul_f16_e32 v20, 0x3a52, v20
	;; [unrolled: 1-line block ×7, first 2 shown]
	v_add_f16_e32 v24, v26, v24
	v_add_f16_e32 v30, v27, v30
	v_mul_f16_e32 v36, 0x3b00, v15
	v_fmamk_f16 v23, v23, 0x2b26, v19
	v_fmamk_f16 v25, v25, 0x2b26, v20
	v_fma_f16 v28, v32, 0x39e0, -v28
	v_fma_f16 v31, v33, 0x39e0, -v31
	;; [unrolled: 1-line block ×4, first 2 shown]
	v_fmamk_f16 v32, v16, 0x3574, v34
	v_fmamk_f16 v33, v17, 0x3574, v35
	v_fma_f16 v15, v15, 0x3b00, -v34
	v_fma_f16 v18, v18, 0x3b00, -v35
	;; [unrolled: 1-line block ×3, first 2 shown]
	v_lshlrev_b32_e32 v34, 16, v30
	v_and_b32_e32 v35, 0xffff, v24
	v_fmac_f16_e32 v24, 0xbcab, v26
	v_fmac_f16_e32 v30, 0xbcab, v27
	v_fma_f16 v16, v16, 0xb574, -v36
	v_fmac_f16_e32 v32, 0x370e, v21
	v_fmac_f16_e32 v33, 0x370e, v22
	;; [unrolled: 1-line block ×4, first 2 shown]
	v_add_f16_e32 v22, v23, v24
	v_add_f16_e32 v23, v25, v30
	v_fmac_f16_e32 v15, 0x370e, v21
	v_fmac_f16_e32 v16, 0x370e, v21
	v_add_f16_e32 v25, v28, v24
	v_add_f16_e32 v19, v19, v24
	;; [unrolled: 1-line block ×5, first 2 shown]
	v_sub_f16_e32 v27, v23, v32
	v_or_b32_e32 v21, v34, v35
	v_add_f16_e32 v28, v17, v19
	v_sub_f16_e32 v30, v20, v16
	v_sub_f16_e32 v31, v25, v18
	v_add_f16_e32 v34, v15, v24
	v_add_f16_e32 v18, v18, v25
	v_sub_f16_e32 v15, v24, v15
	v_sub_f16_e32 v17, v19, v17
	v_add_f16_e32 v16, v16, v20
	v_sub_f16_e32 v19, v22, v33
	v_add_f16_e32 v20, v32, v23
	v_pack_b32_f16 v22, v26, v27
	v_pack_b32_f16 v23, v28, v30
	;; [unrolled: 1-line block ×6, first 2 shown]
	ds_store_2addr_b32 v11, v21, v22 offset1:26
	ds_store_2addr_b32 v11, v23, v24 offset0:52 offset1:78
	ds_store_2addr_b32 v11, v15, v16 offset0:104 offset1:130
	ds_store_b32 v11, v17 offset:624
	global_wb scope:SCOPE_SE
	s_wait_dscnt 0x0
	s_barrier_signal -1
	s_barrier_wait -1
	global_inv scope:SCOPE_SE
	s_clause 0x1
	global_load_b128 v[15:18], v29, s[8:9] offset:720
	global_load_b64 v[19:20], v29, s[8:9] offset:736
	ds_load_b32 v11, v14
	ds_load_b32 v23, v13
	;; [unrolled: 1-line block ×3, first 2 shown]
	ds_load_2addr_b32 v[21:22], v8 offset0:24 offset1:206
	ds_load_b32 v25, v0 offset:4368
	ds_load_b32 v26, v0
	v_add_nc_u32_e32 v27, 0x500, v0
	global_wb scope:SCOPE_SE
	s_wait_loadcnt_dscnt 0x0
	s_barrier_signal -1
	s_barrier_wait -1
	global_inv scope:SCOPE_SE
	v_lshrrev_b32_e32 v28, 16, v11
	v_lshrrev_b32_e32 v29, 16, v23
	;; [unrolled: 1-line block ×13, first 2 shown]
	v_mul_f16_e32 v41, v35, v28
	v_mul_f16_e32 v35, v35, v11
	;; [unrolled: 1-line block ×12, first 2 shown]
	v_fma_f16 v11, v15, v11, -v41
	v_fmac_f16_e32 v35, v15, v28
	v_fma_f16 v15, v16, v23, -v42
	v_fmac_f16_e32 v36, v16, v29
	;; [unrolled: 2-line block ×3, first 2 shown]
	v_fma_f16 v17, v18, v21, -v44
	v_fma_f16 v21, v20, v25, -v46
	v_fmac_f16_e32 v40, v20, v33
	v_fmac_f16_e32 v38, v18, v31
	v_fma_f16 v18, v19, v22, -v45
	v_fmac_f16_e32 v39, v19, v32
	v_add_f16_e32 v19, v11, v21
	v_add_f16_e32 v20, v35, v40
	v_sub_f16_e32 v11, v11, v21
	v_add_f16_e32 v22, v15, v18
	v_add_f16_e32 v23, v36, v39
	v_sub_f16_e32 v21, v35, v40
	v_sub_f16_e32 v15, v15, v18
	;; [unrolled: 1-line block ×3, first 2 shown]
	v_add_f16_e32 v24, v16, v17
	v_add_f16_e32 v25, v37, v38
	v_sub_f16_e32 v16, v17, v16
	v_sub_f16_e32 v17, v38, v37
	v_add_f16_e32 v28, v22, v19
	v_add_f16_e32 v29, v23, v20
	v_sub_f16_e32 v30, v22, v19
	v_sub_f16_e32 v31, v23, v20
	;; [unrolled: 1-line block ×6, first 2 shown]
	v_add_f16_e32 v32, v16, v15
	v_add_f16_e32 v33, v17, v18
	v_sub_f16_e32 v35, v16, v15
	v_sub_f16_e32 v36, v17, v18
	;; [unrolled: 1-line block ×3, first 2 shown]
	v_add_f16_e32 v24, v24, v28
	v_add_f16_e32 v25, v25, v29
	v_sub_f16_e32 v15, v15, v11
	v_sub_f16_e32 v16, v11, v16
	;; [unrolled: 1-line block ×3, first 2 shown]
	v_add_f16_e32 v11, v32, v11
	v_add_f16_e32 v21, v33, v21
	v_mul_f16_e32 v19, 0x3a52, v19
	v_mul_f16_e32 v20, 0x3a52, v20
	;; [unrolled: 1-line block ×7, first 2 shown]
	v_add_f16_e32 v26, v24, v26
	v_add_f16_e32 v34, v25, v34
	v_mul_f16_e32 v35, 0x3b00, v15
	v_fmamk_f16 v22, v22, 0x2b26, v19
	v_fmamk_f16 v23, v23, 0x2b26, v20
	v_fma_f16 v28, v30, 0x39e0, -v28
	v_fma_f16 v29, v31, 0x39e0, -v29
	;; [unrolled: 1-line block ×4, first 2 shown]
	v_fmamk_f16 v30, v16, 0x3574, v32
	v_fmamk_f16 v31, v17, 0x3574, v33
	v_fma_f16 v15, v15, 0x3b00, -v32
	v_fma_f16 v18, v18, 0x3b00, -v33
	;; [unrolled: 1-line block ×3, first 2 shown]
	v_lshlrev_b32_e32 v32, 16, v34
	v_and_b32_e32 v33, 0xffff, v26
	v_fmac_f16_e32 v26, 0xbcab, v24
	v_fmac_f16_e32 v34, 0xbcab, v25
	v_fma_f16 v16, v16, 0xb574, -v35
	v_fmac_f16_e32 v30, 0x370e, v11
	v_fmac_f16_e32 v31, 0x370e, v21
	;; [unrolled: 1-line block ×4, first 2 shown]
	v_add_f16_e32 v21, v22, v26
	v_add_f16_e32 v22, v23, v34
	v_fmac_f16_e32 v15, 0x370e, v11
	v_fmac_f16_e32 v16, 0x370e, v11
	v_add_f16_e32 v23, v28, v26
	v_add_f16_e32 v19, v19, v26
	;; [unrolled: 1-line block ×5, first 2 shown]
	v_sub_f16_e32 v26, v22, v30
	v_or_b32_e32 v11, v32, v33
	v_add_f16_e32 v28, v17, v19
	v_sub_f16_e32 v29, v20, v16
	v_sub_f16_e32 v32, v23, v18
	v_add_f16_e32 v33, v15, v24
	v_add_f16_e32 v18, v18, v23
	v_sub_f16_e32 v15, v24, v15
	v_sub_f16_e32 v17, v19, v17
	v_add_f16_e32 v16, v16, v20
	v_sub_f16_e32 v19, v21, v31
	v_add_f16_e32 v20, v30, v22
	v_pack_b32_f16 v21, v25, v26
	v_pack_b32_f16 v22, v28, v29
	;; [unrolled: 1-line block ×6, first 2 shown]
	ds_store_2addr_b32 v0, v11, v21 offset1:182
	ds_store_2addr_b32 v27, v22, v23 offset0:44 offset1:226
	ds_store_2addr_b32 v8, v15, v16 offset0:24 offset1:206
	ds_store_b32 v0, v17 offset:4368
	global_wb scope:SCOPE_SE
	s_wait_dscnt 0x0
	s_barrier_signal -1
	s_barrier_wait -1
	global_inv scope:SCOPE_SE
	ds_load_b32 v8, v0
	v_sub_nc_u32_e32 v15, 0, v4
                                        ; implicit-def: $vgpr16
                                        ; implicit-def: $vgpr4
	s_wait_dscnt 0x0
	v_lshrrev_b32_e32 v11, 16, v8
	v_cmpx_ne_u32_e32 0, v3
	s_wait_alu 0xfffe
	s_xor_b32 s4, exec_lo, s4
	s_cbranch_execz .LBB0_21
; %bb.20:
	v_mov_b32_e32 v4, 0
	s_delay_alu instid0(VALU_DEP_1)
	v_lshlrev_b64_e32 v[16:17], 2, v[3:4]
	ds_load_b32 v4, v15 offset:5096
	v_add_co_u32 v16, s1, s8, v16
	s_wait_alu 0xf1ff
	v_add_co_ci_u32_e64 v17, s1, s9, v17, s1
	global_load_b32 v16, v[16:17], off offset:5088
	s_wait_dscnt 0x0
	v_lshrrev_b32_e32 v17, 16, v4
	v_sub_f16_e32 v18, v8, v4
	v_add_f16_e32 v8, v4, v8
	s_delay_alu instid0(VALU_DEP_3) | instskip(SKIP_1) | instid1(VALU_DEP_4)
	v_add_f16_e32 v19, v17, v11
	v_sub_f16_e32 v11, v11, v17
	v_mul_f16_e32 v17, 0.5, v18
	s_delay_alu instid0(VALU_DEP_3) | instskip(NEXT) | instid1(VALU_DEP_3)
	v_mul_f16_e32 v19, 0.5, v19
	v_mul_f16_e32 v11, 0.5, v11
	s_wait_loadcnt 0x0
	v_lshrrev_b32_e32 v18, 16, v16
	s_delay_alu instid0(VALU_DEP_1) | instskip(NEXT) | instid1(VALU_DEP_3)
	v_mul_f16_e32 v20, v18, v17
	v_fma_f16 v21, v19, v18, v11
	v_fma_f16 v11, v19, v18, -v11
	s_delay_alu instid0(VALU_DEP_3) | instskip(SKIP_1) | instid1(VALU_DEP_4)
	v_fma_f16 v4, 0.5, v8, v20
	v_fma_f16 v8, v8, 0.5, -v20
	v_fma_f16 v18, -v16, v17, v21
	s_delay_alu instid0(VALU_DEP_4)
	v_fma_f16 v11, -v16, v17, v11
	ds_store_b16 v0, v18 offset:2
	ds_store_b16 v15, v11 offset:5098
	v_fmac_f16_e32 v4, v16, v19
	v_fma_f16 v16, -v16, v19, v8
                                        ; implicit-def: $vgpr11
                                        ; implicit-def: $vgpr8
.LBB0_21:
	s_wait_alu 0xfffe
	s_and_not1_saveexec_b32 s1, s4
	s_cbranch_execz .LBB0_23
; %bb.22:
	v_mov_b32_e32 v17, 0
	v_add_f16_e32 v4, v11, v8
	ds_store_b16 v0, v17 offset:2
	ds_store_b16 v15, v17 offset:5098
	ds_load_u16 v16, v17 offset:2550
	s_wait_dscnt 0x0
	v_xor_b32_e32 v18, 0x8000, v16
	v_sub_f16_e32 v16, v8, v11
	ds_store_b16 v17, v18 offset:2550
.LBB0_23:
	s_wait_alu 0xfffe
	s_or_b32 exec_lo, exec_lo, s1
	v_mov_b32_e32 v8, 0
	s_delay_alu instid0(VALU_DEP_1) | instskip(SKIP_1) | instid1(VALU_DEP_1)
	v_lshlrev_b64_e32 v[17:18], 2, v[7:8]
	v_mov_b32_e32 v11, v8
	v_lshlrev_b64_e32 v[10:11], 2, v[10:11]
	s_delay_alu instid0(VALU_DEP_3) | instskip(SKIP_1) | instid1(VALU_DEP_4)
	v_add_co_u32 v17, s1, s8, v17
	s_wait_alu 0xf1ff
	v_add_co_ci_u32_e64 v18, s1, s9, v18, s1
	s_delay_alu instid0(VALU_DEP_3)
	v_add_co_u32 v10, s1, s8, v10
	global_load_b32 v7, v[17:18], off offset:5088
	s_wait_alu 0xf1ff
	v_add_co_ci_u32_e64 v11, s1, s9, v11, s1
	global_load_b32 v10, v[10:11], off offset:5088
	ds_store_b16 v0, v4
	ds_store_b16 v15, v16 offset:5096
	ds_load_b32 v0, v14
	ds_load_b32 v4, v15 offset:4368
	s_wait_dscnt 0x0
	v_pk_add_f16 v11, v0, v4 neg_lo:[0,1] neg_hi:[0,1]
	v_pk_add_f16 v0, v0, v4
	s_delay_alu instid0(VALU_DEP_1) | instskip(SKIP_1) | instid1(VALU_DEP_2)
	v_bfi_b32 v4, 0xffff, v11, v0
	v_bfi_b32 v0, 0xffff, v0, v11
	v_pk_mul_f16 v4, v4, 0.5 op_sel_hi:[1,0]
	s_delay_alu instid0(VALU_DEP_2) | instskip(SKIP_1) | instid1(VALU_DEP_1)
	v_pk_mul_f16 v0, v0, 0.5 op_sel_hi:[1,0]
	s_wait_loadcnt 0x1
	v_pk_fma_f16 v11, v7, v4, v0 op_sel:[1,0,0]
	v_pk_mul_f16 v16, v7, v4 op_sel_hi:[0,1]
	v_pk_fma_f16 v17, v7, v4, v0 op_sel:[1,0,0] neg_lo:[1,0,0] neg_hi:[1,0,0]
	v_pk_fma_f16 v0, v7, v4, v0 op_sel:[1,0,0] neg_lo:[0,0,1] neg_hi:[0,0,1]
	s_delay_alu instid0(VALU_DEP_3) | instskip(SKIP_1) | instid1(VALU_DEP_4)
	v_pk_add_f16 v4, v11, v16 op_sel:[0,1] op_sel_hi:[1,0]
	v_pk_add_f16 v7, v11, v16 op_sel:[0,1] op_sel_hi:[1,0] neg_lo:[0,1] neg_hi:[0,1]
	v_pk_add_f16 v11, v17, v16 op_sel:[0,1] op_sel_hi:[1,0] neg_lo:[0,1] neg_hi:[0,1]
	s_delay_alu instid0(VALU_DEP_4) | instskip(NEXT) | instid1(VALU_DEP_3)
	v_pk_add_f16 v0, v0, v16 op_sel:[0,1] op_sel_hi:[1,0] neg_lo:[0,1] neg_hi:[0,1]
	v_bfi_b32 v4, 0xffff, v4, v7
	s_delay_alu instid0(VALU_DEP_2)
	v_bfi_b32 v0, 0xffff, v11, v0
	ds_store_b32 v14, v4
	ds_store_b32 v15, v0 offset:4368
	ds_load_b32 v0, v13
	ds_load_b32 v4, v15 offset:3640
	s_wait_dscnt 0x0
	v_pk_add_f16 v7, v0, v4 neg_lo:[0,1] neg_hi:[0,1]
	v_pk_add_f16 v0, v0, v4
	s_delay_alu instid0(VALU_DEP_1) | instskip(SKIP_1) | instid1(VALU_DEP_2)
	v_bfi_b32 v4, 0xffff, v7, v0
	v_bfi_b32 v0, 0xffff, v0, v7
	v_pk_mul_f16 v4, v4, 0.5 op_sel_hi:[1,0]
	s_delay_alu instid0(VALU_DEP_2) | instskip(SKIP_1) | instid1(VALU_DEP_2)
	v_pk_mul_f16 v0, v0, 0.5 op_sel_hi:[1,0]
	s_wait_loadcnt 0x0
	v_pk_mul_f16 v11, v10, v4 op_sel_hi:[0,1]
	s_delay_alu instid0(VALU_DEP_2) | instskip(SKIP_2) | instid1(VALU_DEP_3)
	v_pk_fma_f16 v7, v10, v4, v0 op_sel:[1,0,0]
	v_pk_fma_f16 v14, v10, v4, v0 op_sel:[1,0,0] neg_lo:[1,0,0] neg_hi:[1,0,0]
	v_pk_fma_f16 v0, v10, v4, v0 op_sel:[1,0,0] neg_lo:[0,0,1] neg_hi:[0,0,1]
	v_pk_add_f16 v4, v7, v11 op_sel:[0,1] op_sel_hi:[1,0]
	v_pk_add_f16 v7, v7, v11 op_sel:[0,1] op_sel_hi:[1,0] neg_lo:[0,1] neg_hi:[0,1]
	s_delay_alu instid0(VALU_DEP_4) | instskip(NEXT) | instid1(VALU_DEP_4)
	v_pk_add_f16 v10, v14, v11 op_sel:[0,1] op_sel_hi:[1,0] neg_lo:[0,1] neg_hi:[0,1]
	v_pk_add_f16 v0, v0, v11 op_sel:[0,1] op_sel_hi:[1,0] neg_lo:[0,1] neg_hi:[0,1]
	s_delay_alu instid0(VALU_DEP_3) | instskip(NEXT) | instid1(VALU_DEP_2)
	v_bfi_b32 v4, 0xffff, v4, v7
	v_bfi_b32 v0, 0xffff, v10, v0
	ds_store_b32 v13, v4
	ds_store_b32 v15, v0 offset:3640
	s_and_saveexec_b32 s1, s0
	s_cbranch_execz .LBB0_25
; %bb.24:
	v_mov_b32_e32 v10, v8
	s_delay_alu instid0(VALU_DEP_1) | instskip(NEXT) | instid1(VALU_DEP_1)
	v_lshlrev_b64_e32 v[7:8], 2, v[9:10]
	v_add_co_u32 v7, s0, s8, v7
	s_wait_alu 0xf1ff
	s_delay_alu instid0(VALU_DEP_2)
	v_add_co_ci_u32_e64 v8, s0, s9, v8, s0
	global_load_b32 v0, v[7:8], off offset:5088
	ds_load_b32 v4, v12
	ds_load_b32 v7, v15 offset:2912
	s_wait_dscnt 0x0
	v_pk_add_f16 v8, v4, v7 neg_lo:[0,1] neg_hi:[0,1]
	v_pk_add_f16 v4, v4, v7
	s_delay_alu instid0(VALU_DEP_1) | instskip(SKIP_1) | instid1(VALU_DEP_2)
	v_bfi_b32 v7, 0xffff, v8, v4
	v_bfi_b32 v4, 0xffff, v4, v8
	v_pk_mul_f16 v7, v7, 0.5 op_sel_hi:[1,0]
	s_delay_alu instid0(VALU_DEP_2) | instskip(SKIP_1) | instid1(VALU_DEP_1)
	v_pk_mul_f16 v4, v4, 0.5 op_sel_hi:[1,0]
	s_wait_loadcnt 0x0
	v_pk_fma_f16 v8, v0, v7, v4 op_sel:[1,0,0]
	v_pk_mul_f16 v9, v0, v7 op_sel_hi:[0,1]
	v_pk_fma_f16 v10, v0, v7, v4 op_sel:[1,0,0] neg_lo:[1,0,0] neg_hi:[1,0,0]
	v_pk_fma_f16 v0, v0, v7, v4 op_sel:[1,0,0] neg_lo:[0,0,1] neg_hi:[0,0,1]
	s_delay_alu instid0(VALU_DEP_3) | instskip(SKIP_1) | instid1(VALU_DEP_4)
	v_pk_add_f16 v4, v8, v9 op_sel:[0,1] op_sel_hi:[1,0]
	v_pk_add_f16 v7, v8, v9 op_sel:[0,1] op_sel_hi:[1,0] neg_lo:[0,1] neg_hi:[0,1]
	v_pk_add_f16 v8, v10, v9 op_sel:[0,1] op_sel_hi:[1,0] neg_lo:[0,1] neg_hi:[0,1]
	s_delay_alu instid0(VALU_DEP_4) | instskip(NEXT) | instid1(VALU_DEP_3)
	v_pk_add_f16 v0, v0, v9 op_sel:[0,1] op_sel_hi:[1,0] neg_lo:[0,1] neg_hi:[0,1]
	v_bfi_b32 v4, 0xffff, v4, v7
	s_delay_alu instid0(VALU_DEP_2)
	v_bfi_b32 v0, 0xffff, v8, v0
	ds_store_b32 v12, v4
	ds_store_b32 v15, v0 offset:2912
.LBB0_25:
	s_wait_alu 0xfffe
	s_or_b32 exec_lo, exec_lo, s1
	global_wb scope:SCOPE_SE
	s_wait_dscnt 0x0
	s_barrier_signal -1
	s_barrier_wait -1
	global_inv scope:SCOPE_SE
	s_and_saveexec_b32 s0, vcc_lo
	s_cbranch_execz .LBB0_28
; %bb.26:
	v_mul_lo_u32 v0, s3, v5
	v_mul_lo_u32 v7, s2, v6
	v_mad_co_u64_u32 v[5:6], null, s2, v5, 0
	v_mov_b32_e32 v4, 0
	v_lshl_add_u32 v25, v3, 2, 0
	v_add_nc_u32_e32 v19, 0x38e, v3
	v_add_nc_u32_e32 v23, 0x444, v3
	;; [unrolled: 1-line block ×3, first 2 shown]
	v_add3_u32 v6, v6, v7, v0
	v_add_nc_u32_e32 v7, 0xb6, v3
	v_lshlrev_b64_e32 v[0:1], 2, v[1:2]
	v_dual_mov_b32 v8, v4 :: v_dual_add_nc_u32 v9, 0x16c, v3
	s_delay_alu instid0(VALU_DEP_4)
	v_lshlrev_b64_e32 v[5:6], 2, v[5:6]
	v_lshlrev_b64_e32 v[13:14], 2, v[3:4]
	v_mov_b32_e32 v10, v4
	v_add_nc_u32_e32 v2, 0x500, v25
	v_mov_b32_e32 v18, v4
	v_mov_b32_e32 v20, v4
	v_add_co_u32 v15, vcc_lo, s6, v5
	s_wait_alu 0xfffd
	v_add_co_ci_u32_e32 v16, vcc_lo, s7, v6, vcc_lo
	v_lshlrev_b64_e32 v[5:6], 2, v[7:8]
	s_delay_alu instid0(VALU_DEP_3) | instskip(SKIP_1) | instid1(VALU_DEP_3)
	v_add_co_u32 v0, vcc_lo, v15, v0
	s_wait_alu 0xfffd
	v_add_co_ci_u32_e32 v1, vcc_lo, v16, v1, vcc_lo
	v_dual_mov_b32 v16, v4 :: v_dual_add_nc_u32 v15, 0x222, v3
	v_lshlrev_b64_e32 v[7:8], 2, v[9:10]
	v_add_co_u32 v9, vcc_lo, v0, v13
	s_wait_alu 0xfffd
	v_add_co_ci_u32_e32 v10, vcc_lo, v1, v14, vcc_lo
	v_add_co_u32 v5, vcc_lo, v0, v5
	v_lshlrev_b64_e32 v[15:16], 2, v[15:16]
	s_wait_alu 0xfffd
	v_add_co_ci_u32_e32 v6, vcc_lo, v1, v6, vcc_lo
	ds_load_2addr_b32 v[13:14], v2 offset0:44 offset1:226
	v_add_nc_u32_e32 v2, 0xb00, v25
	ds_load_2addr_b32 v[11:12], v25 offset1:182
	v_add_co_u32 v7, vcc_lo, v0, v7
	v_lshlrev_b64_e32 v[17:18], 2, v[17:18]
	v_mov_b32_e32 v24, v4
	s_wait_alu 0xfffd
	v_add_co_ci_u32_e32 v8, vcc_lo, v1, v8, vcc_lo
	v_add_co_u32 v15, vcc_lo, v0, v15
	v_lshlrev_b64_e32 v[19:20], 2, v[19:20]
	ds_load_2addr_b32 v[21:22], v2 offset0:24 offset1:206
	s_wait_alu 0xfffd
	v_add_co_ci_u32_e32 v16, vcc_lo, v1, v16, vcc_lo
	ds_load_b32 v2, v25 offset:4368
	v_add_co_u32 v17, vcc_lo, v0, v17
	v_lshlrev_b64_e32 v[23:24], 2, v[23:24]
	s_wait_alu 0xfffd
	v_add_co_ci_u32_e32 v18, vcc_lo, v1, v18, vcc_lo
	v_add_co_u32 v19, vcc_lo, v0, v19
	s_wait_alu 0xfffd
	v_add_co_ci_u32_e32 v20, vcc_lo, v1, v20, vcc_lo
	v_add_co_u32 v23, vcc_lo, v0, v23
	s_wait_alu 0xfffd
	v_add_co_ci_u32_e32 v24, vcc_lo, v1, v24, vcc_lo
	v_cmp_eq_u32_e32 vcc_lo, 0xb5, v3
	s_wait_dscnt 0x2
	s_clause 0x3
	global_store_b32 v[9:10], v11, off
	global_store_b32 v[5:6], v12, off
	;; [unrolled: 1-line block ×4, first 2 shown]
	s_wait_dscnt 0x1
	s_clause 0x1
	global_store_b32 v[17:18], v21, off
	global_store_b32 v[19:20], v22, off
	s_wait_dscnt 0x0
	global_store_b32 v[23:24], v2, off
	s_and_b32 exec_lo, exec_lo, vcc_lo
	s_cbranch_execz .LBB0_28
; %bb.27:
	ds_load_b32 v2, v4 offset:5096
	s_wait_dscnt 0x0
	global_store_b32 v[0:1], v2, off offset:5096
.LBB0_28:
	s_nop 0
	s_sendmsg sendmsg(MSG_DEALLOC_VGPRS)
	s_endpgm
	.section	.rodata,"a",@progbits
	.p2align	6, 0x0
	.amdhsa_kernel fft_rtc_fwd_len1274_factors_2_13_7_7_wgs_182_tpt_182_halfLds_half_op_CI_CI_unitstride_sbrr_R2C_dirReg
		.amdhsa_group_segment_fixed_size 0
		.amdhsa_private_segment_fixed_size 0
		.amdhsa_kernarg_size 104
		.amdhsa_user_sgpr_count 2
		.amdhsa_user_sgpr_dispatch_ptr 0
		.amdhsa_user_sgpr_queue_ptr 0
		.amdhsa_user_sgpr_kernarg_segment_ptr 1
		.amdhsa_user_sgpr_dispatch_id 0
		.amdhsa_user_sgpr_private_segment_size 0
		.amdhsa_wavefront_size32 1
		.amdhsa_uses_dynamic_stack 0
		.amdhsa_enable_private_segment 0
		.amdhsa_system_sgpr_workgroup_id_x 1
		.amdhsa_system_sgpr_workgroup_id_y 0
		.amdhsa_system_sgpr_workgroup_id_z 0
		.amdhsa_system_sgpr_workgroup_info 0
		.amdhsa_system_vgpr_workitem_id 0
		.amdhsa_next_free_vgpr 123
		.amdhsa_next_free_sgpr 39
		.amdhsa_reserve_vcc 1
		.amdhsa_float_round_mode_32 0
		.amdhsa_float_round_mode_16_64 0
		.amdhsa_float_denorm_mode_32 3
		.amdhsa_float_denorm_mode_16_64 3
		.amdhsa_fp16_overflow 0
		.amdhsa_workgroup_processor_mode 1
		.amdhsa_memory_ordered 1
		.amdhsa_forward_progress 0
		.amdhsa_round_robin_scheduling 0
		.amdhsa_exception_fp_ieee_invalid_op 0
		.amdhsa_exception_fp_denorm_src 0
		.amdhsa_exception_fp_ieee_div_zero 0
		.amdhsa_exception_fp_ieee_overflow 0
		.amdhsa_exception_fp_ieee_underflow 0
		.amdhsa_exception_fp_ieee_inexact 0
		.amdhsa_exception_int_div_zero 0
	.end_amdhsa_kernel
	.text
.Lfunc_end0:
	.size	fft_rtc_fwd_len1274_factors_2_13_7_7_wgs_182_tpt_182_halfLds_half_op_CI_CI_unitstride_sbrr_R2C_dirReg, .Lfunc_end0-fft_rtc_fwd_len1274_factors_2_13_7_7_wgs_182_tpt_182_halfLds_half_op_CI_CI_unitstride_sbrr_R2C_dirReg
                                        ; -- End function
	.section	.AMDGPU.csdata,"",@progbits
; Kernel info:
; codeLenInByte = 9240
; NumSgprs: 41
; NumVgprs: 123
; ScratchSize: 0
; MemoryBound: 0
; FloatMode: 240
; IeeeMode: 1
; LDSByteSize: 0 bytes/workgroup (compile time only)
; SGPRBlocks: 5
; VGPRBlocks: 15
; NumSGPRsForWavesPerEU: 41
; NumVGPRsForWavesPerEU: 123
; Occupancy: 10
; WaveLimiterHint : 1
; COMPUTE_PGM_RSRC2:SCRATCH_EN: 0
; COMPUTE_PGM_RSRC2:USER_SGPR: 2
; COMPUTE_PGM_RSRC2:TRAP_HANDLER: 0
; COMPUTE_PGM_RSRC2:TGID_X_EN: 1
; COMPUTE_PGM_RSRC2:TGID_Y_EN: 0
; COMPUTE_PGM_RSRC2:TGID_Z_EN: 0
; COMPUTE_PGM_RSRC2:TIDIG_COMP_CNT: 0
	.text
	.p2alignl 7, 3214868480
	.fill 96, 4, 3214868480
	.type	__hip_cuid_450e8787c15570b1,@object ; @__hip_cuid_450e8787c15570b1
	.section	.bss,"aw",@nobits
	.globl	__hip_cuid_450e8787c15570b1
__hip_cuid_450e8787c15570b1:
	.byte	0                               ; 0x0
	.size	__hip_cuid_450e8787c15570b1, 1

	.ident	"AMD clang version 19.0.0git (https://github.com/RadeonOpenCompute/llvm-project roc-6.4.0 25133 c7fe45cf4b819c5991fe208aaa96edf142730f1d)"
	.section	".note.GNU-stack","",@progbits
	.addrsig
	.addrsig_sym __hip_cuid_450e8787c15570b1
	.amdgpu_metadata
---
amdhsa.kernels:
  - .args:
      - .actual_access:  read_only
        .address_space:  global
        .offset:         0
        .size:           8
        .value_kind:     global_buffer
      - .offset:         8
        .size:           8
        .value_kind:     by_value
      - .actual_access:  read_only
        .address_space:  global
        .offset:         16
        .size:           8
        .value_kind:     global_buffer
      - .actual_access:  read_only
        .address_space:  global
        .offset:         24
        .size:           8
        .value_kind:     global_buffer
      - .actual_access:  read_only
        .address_space:  global
        .offset:         32
        .size:           8
        .value_kind:     global_buffer
      - .offset:         40
        .size:           8
        .value_kind:     by_value
      - .actual_access:  read_only
        .address_space:  global
        .offset:         48
        .size:           8
        .value_kind:     global_buffer
      - .actual_access:  read_only
        .address_space:  global
        .offset:         56
        .size:           8
        .value_kind:     global_buffer
      - .offset:         64
        .size:           4
        .value_kind:     by_value
      - .actual_access:  read_only
        .address_space:  global
        .offset:         72
        .size:           8
        .value_kind:     global_buffer
      - .actual_access:  read_only
        .address_space:  global
        .offset:         80
        .size:           8
        .value_kind:     global_buffer
      - .actual_access:  read_only
        .address_space:  global
        .offset:         88
        .size:           8
        .value_kind:     global_buffer
      - .actual_access:  write_only
        .address_space:  global
        .offset:         96
        .size:           8
        .value_kind:     global_buffer
    .group_segment_fixed_size: 0
    .kernarg_segment_align: 8
    .kernarg_segment_size: 104
    .language:       OpenCL C
    .language_version:
      - 2
      - 0
    .max_flat_workgroup_size: 182
    .name:           fft_rtc_fwd_len1274_factors_2_13_7_7_wgs_182_tpt_182_halfLds_half_op_CI_CI_unitstride_sbrr_R2C_dirReg
    .private_segment_fixed_size: 0
    .sgpr_count:     41
    .sgpr_spill_count: 0
    .symbol:         fft_rtc_fwd_len1274_factors_2_13_7_7_wgs_182_tpt_182_halfLds_half_op_CI_CI_unitstride_sbrr_R2C_dirReg.kd
    .uniform_work_group_size: 1
    .uses_dynamic_stack: false
    .vgpr_count:     123
    .vgpr_spill_count: 0
    .wavefront_size: 32
    .workgroup_processor_mode: 1
amdhsa.target:   amdgcn-amd-amdhsa--gfx1201
amdhsa.version:
  - 1
  - 2
...

	.end_amdgpu_metadata
